;; amdgpu-corpus repo=ROCm/rocFFT kind=compiled arch=gfx1030 opt=O3
	.text
	.amdgcn_target "amdgcn-amd-amdhsa--gfx1030"
	.amdhsa_code_object_version 6
	.protected	bluestein_single_fwd_len128_dim1_dp_op_CI_CI ; -- Begin function bluestein_single_fwd_len128_dim1_dp_op_CI_CI
	.globl	bluestein_single_fwd_len128_dim1_dp_op_CI_CI
	.p2align	8
	.type	bluestein_single_fwd_len128_dim1_dp_op_CI_CI,@function
bluestein_single_fwd_len128_dim1_dp_op_CI_CI: ; @bluestein_single_fwd_len128_dim1_dp_op_CI_CI
; %bb.0:
	s_load_dwordx4 s[0:3], s[4:5], 0x28
	v_lshrrev_b32_e32 v1, 4, v0
	v_mov_b32_e32 v97, 0
	v_lshl_or_b32 v96, s6, 4, v1
	s_waitcnt lgkmcnt(0)
	v_cmp_gt_u64_e32 vcc_lo, s[0:1], v[96:97]
	s_and_saveexec_b32 s0, vcc_lo
	s_cbranch_execz .LBB0_15
; %bb.1:
	s_clause 0x1
	s_load_dwordx2 s[14:15], s[4:5], 0x0
	s_load_dwordx2 s[12:13], s[4:5], 0x38
	v_and_b32_e32 v97, 15, v0
	v_lshlrev_b32_e32 v65, 7, v1
	v_cmp_gt_u32_e32 vcc_lo, 8, v97
	v_lshlrev_b32_e32 v107, 4, v97
	v_or_b32_e32 v64, v65, v97
	v_or_b32_e32 v98, 8, v97
	v_add_lshl_u32 v106, v65, v97, 4
	v_or_b32_e32 v99, 24, v97
	v_or_b32_e32 v100, 40, v97
	;; [unrolled: 1-line block ×7, first 2 shown]
	s_and_saveexec_b32 s1, vcc_lo
	s_cbranch_execz .LBB0_3
; %bb.2:
	s_load_dwordx2 s[6:7], s[4:5], 0x18
	s_waitcnt lgkmcnt(0)
	s_load_dwordx4 s[8:11], s[6:7], 0x0
	s_clause 0x3
	global_load_dwordx4 v[0:3], v107, s[14:15]
	global_load_dwordx4 v[4:7], v107, s[14:15] offset:128
	global_load_dwordx4 v[8:11], v107, s[14:15] offset:1408
	;; [unrolled: 1-line block ×3, first 2 shown]
	s_waitcnt lgkmcnt(0)
	v_mad_u64_u32 v[16:17], null, s10, v96, 0
	v_mad_u64_u32 v[18:19], null, s8, v97, 0
	;; [unrolled: 1-line block ×9, first 2 shown]
	v_mov_b32_e32 v17, v28
	v_mad_u64_u32 v[31:32], null, s9, v103, v[23:24]
	v_mov_b32_e32 v19, v29
	v_mad_u64_u32 v[32:33], null, s9, v104, v[25:26]
	v_lshlrev_b64 v[16:17], 4, v[16:17]
	v_mov_b32_e32 v21, v30
	v_mad_u64_u32 v[33:34], null, s9, v99, v[27:28]
	v_mad_u64_u32 v[66:67], null, s8, v100, 0
	;; [unrolled: 1-line block ×3, first 2 shown]
	v_lshlrev_b64 v[18:19], 4, v[18:19]
	v_mov_b32_e32 v23, v31
	v_add_co_u32 v80, s0, s2, v16
	v_mad_u64_u32 v[72:73], null, s8, v102, 0
	v_lshlrev_b64 v[20:21], 4, v[20:21]
	v_add_co_ci_u32_e64 v81, s0, s3, v17, s0
	v_mov_b32_e32 v25, v32
	v_mad_u64_u32 v[74:75], null, s8, v105, 0
	v_lshlrev_b64 v[22:23], 4, v[22:23]
	v_add_co_u32 v32, s0, v80, v18
	v_mov_b32_e32 v27, v33
	v_mov_b32_e32 v48, v67
	;; [unrolled: 1-line block ×3, first 2 shown]
	v_add_co_ci_u32_e64 v33, s0, v81, v19, s0
	v_lshlrev_b64 v[24:25], 4, v[24:25]
	v_add_co_u32 v20, s0, v80, v20
	v_mov_b32_e32 v50, v73
	v_add_co_ci_u32_e64 v21, s0, v81, v21, s0
	v_lshlrev_b64 v[16:17], 4, v[26:27]
	v_add_co_u32 v26, s0, v80, v22
	v_mad_u64_u32 v[56:57], null, s9, v100, v[48:49]
	v_mov_b32_e32 v51, v75
	v_add_co_ci_u32_e64 v27, s0, v81, v23, s0
	v_add_co_u32 v28, s0, v80, v24
	v_mad_u64_u32 v[75:76], null, s9, v101, v[49:50]
	v_add_co_ci_u32_e64 v29, s0, v81, v25, s0
	v_add_co_u32 v44, s0, v80, v16
	v_mad_u64_u32 v[76:77], null, s9, v102, v[50:51]
	s_lshl_b64 s[6:7], s[8:9], 8
	v_add_co_ci_u32_e64 v45, s0, v81, v17, s0
	v_mad_u64_u32 v[77:78], null, s9, v105, v[51:52]
	v_mov_b32_e32 v67, v56
	v_add_co_u32 v68, s0, v32, s6
	v_add_co_ci_u32_e64 v69, s0, s7, v33, s0
	v_mov_b32_e32 v71, v75
	v_lshlrev_b64 v[66:67], 4, v[66:67]
	v_mov_b32_e32 v73, v76
	v_add_co_u32 v76, s0, v68, s6
	s_clause 0x3
	global_load_dwordx4 v[16:19], v[32:33], off
	global_load_dwordx4 v[20:23], v[20:21], off
	;; [unrolled: 1-line block ×4, first 2 shown]
	s_clause 0x1
	global_load_dwordx4 v[32:35], v107, s[14:15] offset:256
	global_load_dwordx4 v[36:39], v107, s[14:15] offset:384
	s_clause 0x1
	global_load_dwordx4 v[40:43], v[68:69], off
	global_load_dwordx4 v[44:47], v[44:45], off
	v_mov_b32_e32 v75, v77
	v_add_co_ci_u32_e64 v77, s0, s7, v69, s0
	v_lshlrev_b64 v[68:69], 4, v[70:71]
	v_lshlrev_b64 v[70:71], 4, v[72:73]
	v_add_co_u32 v78, s0, v80, v66
	v_add_co_ci_u32_e64 v79, s0, v81, v67, s0
	v_lshlrev_b64 v[72:73], 4, v[74:75]
	v_add_co_u32 v94, s0, v80, v68
	v_add_co_ci_u32_e64 v95, s0, v81, v69, s0
	v_add_co_u32 v116, s0, v80, v70
	v_add_co_ci_u32_e64 v117, s0, v81, v71, s0
	;; [unrolled: 2-line block ×3, first 2 shown]
	s_clause 0x4
	global_load_dwordx4 v[48:51], v107, s[14:15] offset:512
	global_load_dwordx4 v[52:55], v107, s[14:15] offset:640
	;; [unrolled: 1-line block ×5, first 2 shown]
	v_add_co_u32 v90, s0, v76, s6
	v_add_co_ci_u32_e64 v91, s0, s7, v77, s0
	s_clause 0x2
	global_load_dwordx4 v[70:73], v[70:71], off
	global_load_dwordx4 v[74:77], v[76:77], off
	;; [unrolled: 1-line block ×3, first 2 shown]
	v_add_co_u32 v118, s0, v90, s6
	v_add_co_ci_u32_e64 v119, s0, s7, v91, s0
	s_clause 0x1
	global_load_dwordx4 v[82:85], v107, s[14:15] offset:1024
	global_load_dwordx4 v[86:89], v107, s[14:15] offset:1152
	s_clause 0x2
	global_load_dwordx4 v[90:93], v[90:91], off
	global_load_dwordx4 v[108:111], v[94:95], off
	;; [unrolled: 1-line block ×3, first 2 shown]
	v_add_co_u32 v94, s0, v118, s6
	v_add_co_ci_u32_e64 v95, s0, s7, v119, s0
	global_load_dwordx4 v[116:119], v[116:117], off
	v_add_co_u32 v132, s0, v94, s6
	v_add_co_ci_u32_e64 v133, s0, s7, v95, s0
	global_load_dwordx4 v[120:123], v107, s[14:15] offset:1280
	v_add_co_u32 v140, s0, v132, s6
	v_add_co_ci_u32_e64 v141, s0, s7, v133, s0
	global_load_dwordx4 v[124:127], v[94:95], off
	global_load_dwordx4 v[128:131], v107, s[14:15] offset:1536
	global_load_dwordx4 v[132:135], v[132:133], off
	global_load_dwordx4 v[136:139], v107, s[14:15] offset:1792
	global_load_dwordx4 v[140:143], v[140:141], off
	s_waitcnt vmcnt(27)
	v_mul_f64 v[94:95], v[18:19], v[2:3]
	v_mul_f64 v[2:3], v[16:17], v[2:3]
	s_waitcnt vmcnt(26)
	v_mul_f64 v[144:145], v[22:23], v[6:7]
	v_mul_f64 v[6:7], v[20:21], v[6:7]
	s_waitcnt vmcnt(25)
	v_mul_f64 v[146:147], v[26:27], v[10:11]
	v_mul_f64 v[10:11], v[24:25], v[10:11]
	s_waitcnt vmcnt(24)
	v_mul_f64 v[148:149], v[30:31], v[14:15]
	v_mul_f64 v[150:151], v[28:29], v[14:15]
	s_waitcnt vmcnt(20)
	v_mul_f64 v[156:157], v[46:47], v[38:39]
	v_mul_f64 v[38:39], v[44:45], v[38:39]
	v_fma_f64 v[14:15], v[16:17], v[0:1], v[94:95]
	v_fma_f64 v[16:17], v[18:19], v[0:1], -v[2:3]
	v_fma_f64 v[0:1], v[20:21], v[4:5], v[144:145]
	v_fma_f64 v[2:3], v[22:23], v[4:5], -v[6:7]
	;; [unrolled: 2-line block ×5, first 2 shown]
	s_waitcnt vmcnt(14)
	v_mul_f64 v[152:153], v[72:73], v[68:69]
	v_mul_f64 v[154:155], v[70:71], v[68:69]
	;; [unrolled: 1-line block ×4, first 2 shown]
	s_waitcnt vmcnt(13)
	v_mul_f64 v[158:159], v[76:77], v[50:51]
	v_mul_f64 v[50:51], v[74:75], v[50:51]
	s_waitcnt vmcnt(12)
	v_mul_f64 v[160:161], v[80:81], v[54:55]
	v_mul_f64 v[54:55], v[78:79], v[54:55]
	;; [unrolled: 3-line block ×7, first 2 shown]
	s_waitcnt vmcnt(2)
	v_mul_f64 v[94:95], v[132:133], v[130:131]
	v_fma_f64 v[18:19], v[70:71], v[66:67], v[152:153]
	v_mul_f64 v[70:71], v[134:135], v[130:131]
	s_waitcnt vmcnt(0)
	v_mul_f64 v[122:123], v[142:143], v[138:139]
	v_mul_f64 v[130:131], v[140:141], v[138:139]
	v_fma_f64 v[22:23], v[40:41], v[32:33], v[68:69]
	v_fma_f64 v[24:25], v[42:43], v[32:33], -v[34:35]
	v_fma_f64 v[30:31], v[74:75], v[48:49], v[158:159]
	v_fma_f64 v[32:33], v[76:77], v[48:49], -v[50:51]
	;; [unrolled: 2-line block ×8, first 2 shown]
	v_fma_f64 v[60:61], v[134:135], v[128:129], -v[94:95]
	v_fma_f64 v[20:21], v[72:73], v[66:67], -v[154:155]
	v_lshlrev_b32_e32 v12, 4, v64
	v_fma_f64 v[58:59], v[132:133], v[128:129], v[70:71]
	v_fma_f64 v[68:69], v[140:141], v[136:137], v[122:123]
	v_fma_f64 v[70:71], v[142:143], v[136:137], -v[130:131]
	ds_write_b128 v12, v[14:17]
	ds_write_b128 v106, v[0:3] offset:128
	ds_write_b128 v106, v[4:7] offset:1408
	;; [unrolled: 1-line block ×15, first 2 shown]
.LBB0_3:
	s_or_b32 exec_lo, exec_lo, s1
	s_load_dwordx2 s[0:1], s[4:5], 0x20
	s_waitcnt lgkmcnt(0)
	s_barrier
	buffer_gl0_inv
                                        ; implicit-def: $vgpr34_vgpr35
                                        ; implicit-def: $vgpr6_vgpr7
                                        ; implicit-def: $vgpr56_vgpr57
                                        ; implicit-def: $vgpr60_vgpr61
                                        ; implicit-def: $vgpr48_vgpr49
                                        ; implicit-def: $vgpr52_vgpr53
                                        ; implicit-def: $vgpr40_vgpr41
                                        ; implicit-def: $vgpr44_vgpr45
                                        ; implicit-def: $vgpr36_vgpr37
                                        ; implicit-def: $vgpr24_vgpr25
                                        ; implicit-def: $vgpr20_vgpr21
                                        ; implicit-def: $vgpr12_vgpr13
                                        ; implicit-def: $vgpr28_vgpr29
                                        ; implicit-def: $vgpr8_vgpr9
                                        ; implicit-def: $vgpr16_vgpr17
                                        ; implicit-def: $vgpr0_vgpr1
	s_and_saveexec_b32 s2, vcc_lo
	s_cbranch_execz .LBB0_5
; %bb.4:
	v_lshlrev_b32_e32 v56, 4, v64
	ds_read_b128 v[4:7], v56
	ds_read_b128 v[0:3], v56 offset:128
	ds_read_b128 v[16:19], v56 offset:256
	;; [unrolled: 1-line block ×15, first 2 shown]
.LBB0_5:
	s_or_b32 exec_lo, exec_lo, s2
	s_waitcnt lgkmcnt(7)
	v_add_f64 v[36:37], v[4:5], -v[36:37]
	v_add_f64 v[38:39], v[6:7], -v[38:39]
	s_waitcnt lgkmcnt(3)
	v_add_f64 v[52:53], v[28:29], -v[52:53]
	v_add_f64 v[54:55], v[30:31], -v[54:55]
	;; [unrolled: 1-line block ×4, first 2 shown]
	s_waitcnt lgkmcnt(1)
	v_add_f64 v[60:61], v[20:21], -v[60:61]
	v_add_f64 v[62:63], v[22:23], -v[62:63]
	;; [unrolled: 1-line block ×8, first 2 shown]
	s_waitcnt lgkmcnt(0)
	v_add_f64 v[58:59], v[26:27], -v[58:59]
	v_add_f64 v[56:57], v[24:25], -v[56:57]
	s_mov_b32 s2, 0x667f3bcd
	s_mov_b32 s3, 0xbfe6a09e
	;; [unrolled: 1-line block ×6, first 2 shown]
	v_fma_f64 v[4:5], v[4:5], 2.0, -v[36:37]
	v_fma_f64 v[6:7], v[6:7], 2.0, -v[38:39]
	;; [unrolled: 1-line block ×4, first 2 shown]
	v_add_f64 v[54:55], v[36:37], -v[54:55]
	v_add_f64 v[52:53], v[38:39], v[52:53]
	v_fma_f64 v[20:21], v[20:21], 2.0, -v[60:61]
	v_add_f64 v[66:67], v[44:45], -v[62:63]
	v_add_f64 v[60:61], v[60:61], v[46:47]
	v_fma_f64 v[16:17], v[16:17], 2.0, -v[44:45]
	v_add_f64 v[70:71], v[48:49], v[34:35]
	v_add_f64 v[68:69], v[32:33], -v[50:51]
	v_fma_f64 v[18:19], v[18:19], 2.0, -v[46:47]
	v_fma_f64 v[22:23], v[22:23], 2.0, -v[62:63]
	v_add_f64 v[72:73], v[40:41], -v[58:59]
	v_add_f64 v[74:75], v[56:57], v[42:43]
	v_fma_f64 v[0:1], v[0:1], 2.0, -v[32:33]
	v_fma_f64 v[2:3], v[2:3], 2.0, -v[34:35]
	v_fma_f64 v[12:13], v[12:13], 2.0, -v[48:49]
	v_fma_f64 v[14:15], v[14:15], 2.0, -v[50:51]
	v_fma_f64 v[8:9], v[8:9], 2.0, -v[40:41]
	v_fma_f64 v[10:11], v[10:11], 2.0, -v[42:43]
	v_fma_f64 v[24:25], v[24:25], 2.0, -v[56:57]
	v_fma_f64 v[26:27], v[26:27], 2.0, -v[58:59]
	v_add_f64 v[28:29], v[4:5], -v[28:29]
	v_add_f64 v[30:31], v[6:7], -v[30:31]
	v_fma_f64 v[36:37], v[36:37], 2.0, -v[54:55]
	v_fma_f64 v[38:39], v[38:39], 2.0, -v[52:53]
	s_mov_b32 s7, 0xbfed906b
	v_fma_f64 v[44:45], v[44:45], 2.0, -v[66:67]
	v_fma_f64 v[46:47], v[46:47], 2.0, -v[60:61]
	v_add_f64 v[20:21], v[16:17], -v[20:21]
	v_fma_f64 v[34:35], v[34:35], 2.0, -v[70:71]
	v_fma_f64 v[32:33], v[32:33], 2.0, -v[68:69]
	v_fma_f64 v[48:49], v[66:67], s[8:9], v[54:55]
	v_add_f64 v[22:23], v[18:19], -v[22:23]
	v_fma_f64 v[40:41], v[40:41], 2.0, -v[72:73]
	v_fma_f64 v[42:43], v[42:43], 2.0, -v[74:75]
	v_fma_f64 v[50:51], v[60:61], s[8:9], v[52:53]
	v_fma_f64 v[58:59], v[72:73], s[8:9], v[68:69]
	v_add_f64 v[12:13], v[0:1], -v[12:13]
	v_add_f64 v[14:15], v[2:3], -v[14:15]
	v_fma_f64 v[76:77], v[74:75], s[8:9], v[70:71]
	s_mov_b32 s11, 0xbfd87de2
	v_add_f64 v[56:57], v[8:9], -v[24:25]
	v_add_f64 v[26:27], v[10:11], -v[26:27]
	v_fma_f64 v[86:87], v[4:5], 2.0, -v[28:29]
	v_fma_f64 v[88:89], v[6:7], 2.0, -v[30:31]
	s_mov_b32 s17, 0x3fd87de2
	s_mov_b32 s19, 0x3fed906b
	;; [unrolled: 1-line block ×3, first 2 shown]
	v_fma_f64 v[78:79], v[44:45], s[2:3], v[36:37]
	v_fma_f64 v[80:81], v[46:47], s[2:3], v[38:39]
	v_fma_f64 v[6:7], v[16:17], 2.0, -v[20:21]
	v_add_f64 v[24:25], v[30:31], v[20:21]
	s_mov_b32 s18, s6
	s_load_dwordx2 s[4:5], s[4:5], 0x8
	v_fma_f64 v[16:17], v[18:19], 2.0, -v[22:23]
	v_fma_f64 v[82:83], v[40:41], s[2:3], v[32:33]
	v_fma_f64 v[84:85], v[42:43], s[2:3], v[34:35]
	;; [unrolled: 1-line block ×4, first 2 shown]
	v_fma_f64 v[90:91], v[0:1], 2.0, -v[12:13]
	v_fma_f64 v[92:93], v[2:3], 2.0, -v[14:15]
	v_add_f64 v[0:1], v[28:29], -v[22:23]
	v_fma_f64 v[2:3], v[60:61], s[2:3], v[48:49]
	v_fma_f64 v[48:49], v[8:9], 2.0, -v[56:57]
	v_fma_f64 v[50:51], v[10:11], 2.0, -v[26:27]
	v_add_f64 v[66:67], v[12:13], -v[26:27]
	v_add_f64 v[56:57], v[56:57], v[14:15]
	v_fma_f64 v[72:73], v[72:73], s[8:9], v[76:77]
	s_waitcnt lgkmcnt(0)
	s_barrier
	v_fma_f64 v[4:5], v[46:47], s[2:3], v[78:79]
	v_fma_f64 v[22:23], v[44:45], s[8:9], v[80:81]
	v_add_f64 v[6:7], v[86:87], -v[6:7]
	buffer_gl0_inv
	v_add_f64 v[20:21], v[88:89], -v[16:17]
	v_fma_f64 v[76:77], v[42:43], s[2:3], v[82:83]
	v_fma_f64 v[78:79], v[40:41], s[8:9], v[84:85]
	v_fma_f64 v[16:17], v[30:31], 2.0, -v[24:25]
	v_fma_f64 v[18:19], v[52:53], 2.0, -v[62:63]
	;; [unrolled: 1-line block ×4, first 2 shown]
	v_add_f64 v[28:29], v[90:91], -v[48:49]
	v_add_f64 v[30:31], v[92:93], -v[50:51]
	v_fma_f64 v[40:41], v[12:13], 2.0, -v[66:67]
	v_fma_f64 v[42:43], v[14:15], 2.0, -v[56:57]
	v_fma_f64 v[48:49], v[68:69], 2.0, -v[74:75]
	v_fma_f64 v[50:51], v[70:71], 2.0, -v[72:73]
	v_fma_f64 v[44:45], v[56:57], s[8:9], v[24:25]
	v_fma_f64 v[12:13], v[36:37], 2.0, -v[4:5]
	v_fma_f64 v[14:15], v[38:39], 2.0, -v[22:23]
	v_fma_f64 v[46:47], v[74:75], s[18:19], v[2:3]
	v_fma_f64 v[26:27], v[86:87], 2.0, -v[6:7]
	v_fma_f64 v[108:109], v[72:73], s[18:19], v[62:63]
	v_fma_f64 v[60:61], v[88:89], 2.0, -v[20:21]
	v_fma_f64 v[54:55], v[32:33], 2.0, -v[76:77]
	;; [unrolled: 1-line block ×3, first 2 shown]
	v_fma_f64 v[34:35], v[66:67], s[8:9], v[0:1]
	v_fma_f64 v[88:89], v[76:77], s[16:17], v[4:5]
	v_fma_f64 v[68:69], v[90:91], 2.0, -v[28:29]
	v_fma_f64 v[70:71], v[92:93], 2.0, -v[30:31]
	v_fma_f64 v[80:81], v[40:41], s[2:3], v[8:9]
	v_fma_f64 v[82:83], v[42:43], s[2:3], v[16:17]
	v_fma_f64 v[84:85], v[48:49], s[10:11], v[10:11]
	v_fma_f64 v[86:87], v[50:51], s[10:11], v[18:19]
	v_fma_f64 v[90:91], v[78:79], s[16:17], v[22:23]
	v_add_f64 v[36:37], v[6:7], -v[30:31]
	v_add_f64 v[38:39], v[20:21], v[28:29]
	v_fma_f64 v[58:59], v[66:67], s[8:9], v[44:45]
	v_fma_f64 v[52:53], v[72:73], s[10:11], v[46:47]
	;; [unrolled: 1-line block ×5, first 2 shown]
	v_add_f64 v[28:29], v[26:27], -v[68:69]
	v_add_f64 v[30:31], v[60:61], -v[70:71]
	v_fma_f64 v[44:45], v[42:43], s[2:3], v[80:81]
	v_fma_f64 v[46:47], v[40:41], s[8:9], v[82:83]
	v_fma_f64 v[40:41], v[50:51], s[6:7], v[84:85]
	v_fma_f64 v[42:43], v[48:49], s[18:19], v[86:87]
	v_fma_f64 v[48:49], v[78:79], s[6:7], v[88:89]
	v_fma_f64 v[50:51], v[76:77], s[18:19], v[90:91]
	v_fma_f64 v[32:33], v[32:33], s[10:11], v[92:93]
	v_fma_f64 v[34:35], v[54:55], s[16:17], v[94:95]
	v_fma_f64 v[54:55], v[74:75], s[16:17], v[108:109]
	v_lshlrev_b32_e32 v109, 4, v65
	s_and_saveexec_b32 s6, vcc_lo
	s_cbranch_execz .LBB0_7
; %bb.6:
	v_fma_f64 v[79:80], v[60:61], 2.0, -v[30:31]
	v_fma_f64 v[77:78], v[26:27], 2.0, -v[28:29]
	;; [unrolled: 1-line block ×16, first 2 shown]
	v_lshl_or_b32 v0, v97, 8, v109
	ds_write_b128 v0, v[77:80]
	ds_write_b128 v0, v[73:76] offset:16
	ds_write_b128 v0, v[14:17] offset:32
	;; [unrolled: 1-line block ×15, first 2 shown]
.LBB0_7:
	s_or_b32 exec_lo, exec_lo, s6
	v_mad_u64_u32 v[16:17], null, 0x70, v97, s[4:5]
	s_load_dwordx4 s[4:7], s[0:1], 0x0
	s_waitcnt lgkmcnt(0)
	s_barrier
	buffer_gl0_inv
	v_lshlrev_b32_e32 v108, 4, v64
	s_clause 0x6
	global_load_dwordx4 v[8:11], v[16:17], off
	global_load_dwordx4 v[4:7], v[16:17], off offset:16
	global_load_dwordx4 v[0:3], v[16:17], off offset:48
	;; [unrolled: 1-line block ×6, first 2 shown]
	ds_read_b128 v[60:63], v108 offset:256
	ds_read_b128 v[64:67], v108 offset:512
	;; [unrolled: 1-line block ×7, first 2 shown]
	ds_read_b128 v[88:91], v108
	s_waitcnt vmcnt(6) lgkmcnt(7)
	v_mul_f64 v[92:93], v[62:63], v[10:11]
	v_mul_f64 v[94:95], v[60:61], v[10:11]
	s_waitcnt vmcnt(5) lgkmcnt(6)
	v_mul_f64 v[110:111], v[66:67], v[6:7]
	v_mul_f64 v[112:113], v[64:65], v[6:7]
	;; [unrolled: 3-line block ×7, first 2 shown]
	v_fma_f64 v[60:61], v[60:61], v[8:9], -v[92:93]
	v_fma_f64 v[62:63], v[62:63], v[8:9], v[94:95]
	v_fma_f64 v[64:65], v[64:65], v[4:5], -v[110:111]
	v_fma_f64 v[66:67], v[66:67], v[4:5], v[112:113]
	;; [unrolled: 2-line block ×7, first 2 shown]
	s_waitcnt lgkmcnt(0)
	v_add_f64 v[68:69], v[88:89], -v[68:69]
	v_add_f64 v[70:71], v[90:91], -v[70:71]
	;; [unrolled: 1-line block ×8, first 2 shown]
	v_fma_f64 v[88:89], v[88:89], 2.0, -v[68:69]
	v_fma_f64 v[90:91], v[90:91], 2.0, -v[70:71]
	;; [unrolled: 1-line block ×6, first 2 shown]
	v_add_f64 v[74:75], v[68:69], -v[74:75]
	v_add_f64 v[92:93], v[70:71], v[72:73]
	v_fma_f64 v[72:73], v[80:81], 2.0, -v[84:85]
	v_fma_f64 v[80:81], v[82:83], 2.0, -v[86:87]
	v_add_f64 v[82:83], v[76:77], -v[86:87]
	v_add_f64 v[94:95], v[78:79], v[84:85]
	v_add_f64 v[64:65], v[88:89], -v[64:65]
	v_add_f64 v[66:67], v[90:91], -v[66:67]
	v_fma_f64 v[110:111], v[68:69], 2.0, -v[74:75]
	v_fma_f64 v[112:113], v[70:71], 2.0, -v[92:93]
	v_add_f64 v[68:69], v[60:61], -v[72:73]
	v_add_f64 v[70:71], v[62:63], -v[80:81]
	v_fma_f64 v[72:73], v[76:77], 2.0, -v[82:83]
	v_fma_f64 v[80:81], v[78:79], 2.0, -v[94:95]
	v_fma_f64 v[76:77], v[82:83], s[8:9], v[74:75]
	v_fma_f64 v[78:79], v[94:95], s[8:9], v[92:93]
	v_fma_f64 v[114:115], v[88:89], 2.0, -v[64:65]
	v_fma_f64 v[116:117], v[90:91], 2.0, -v[66:67]
	;; [unrolled: 1-line block ×4, first 2 shown]
	v_fma_f64 v[118:119], v[72:73], s[2:3], v[110:111]
	v_fma_f64 v[120:121], v[80:81], s[2:3], v[112:113]
	v_add_f64 v[84:85], v[64:65], -v[70:71]
	v_add_f64 v[86:87], v[66:67], v[68:69]
	v_fma_f64 v[88:89], v[94:95], s[2:3], v[76:77]
	v_fma_f64 v[90:91], v[82:83], s[8:9], v[78:79]
	v_add_f64 v[76:77], v[114:115], -v[60:61]
	v_add_f64 v[78:79], v[116:117], -v[62:63]
	v_fma_f64 v[80:81], v[80:81], s[2:3], v[118:119]
	v_fma_f64 v[82:83], v[72:73], s[8:9], v[120:121]
	v_fma_f64 v[68:69], v[64:65], 2.0, -v[84:85]
	v_fma_f64 v[70:71], v[66:67], 2.0, -v[86:87]
	;; [unrolled: 1-line block ×8, first 2 shown]
	ds_write_b128 v108, v[84:87] offset:1536
	ds_write_b128 v108, v[88:91] offset:1792
	;; [unrolled: 1-line block ×6, first 2 shown]
	ds_write_b128 v108, v[60:63]
	ds_write_b128 v108, v[64:67] offset:256
	s_waitcnt lgkmcnt(0)
	s_barrier
	buffer_gl0_inv
	s_and_saveexec_b32 s1, vcc_lo
	s_cbranch_execz .LBB0_9
; %bb.8:
	v_add_co_u32 v92, s0, s14, v107
	v_add_co_ci_u32_e64 v93, null, s15, 0, s0
	v_add_co_u32 v166, s0, 0x800, v92
	v_add_co_ci_u32_e64 v167, s0, 0, v93, s0
	s_clause 0xf
	global_load_dwordx4 v[110:113], v[166:167], off
	global_load_dwordx4 v[92:95], v[166:167], off offset:128
	global_load_dwordx4 v[114:117], v[166:167], off offset:256
	;; [unrolled: 1-line block ×15, first 2 shown]
	ds_read_b128 v[170:173], v108
	s_waitcnt vmcnt(15) lgkmcnt(0)
	v_mul_f64 v[174:175], v[172:173], v[112:113]
	v_mul_f64 v[112:113], v[170:171], v[112:113]
	v_fma_f64 v[170:171], v[170:171], v[110:111], -v[174:175]
	v_fma_f64 v[172:173], v[172:173], v[110:111], v[112:113]
	ds_write_b128 v108, v[170:173]
	ds_read_b128 v[110:113], v106 offset:128
	ds_read_b128 v[170:173], v106 offset:256
	;; [unrolled: 1-line block ×15, first 2 shown]
	s_waitcnt vmcnt(14) lgkmcnt(14)
	v_mul_f64 v[226:227], v[112:113], v[94:95]
	v_mul_f64 v[94:95], v[110:111], v[94:95]
	s_waitcnt vmcnt(13) lgkmcnt(13)
	v_mul_f64 v[228:229], v[172:173], v[116:117]
	v_mul_f64 v[116:117], v[170:171], v[116:117]
	;; [unrolled: 3-line block ×14, first 2 shown]
	v_fma_f64 v[110:111], v[110:111], v[92:93], -v[226:227]
	s_waitcnt vmcnt(0) lgkmcnt(0)
	v_mul_f64 v[226:227], v[224:225], v[168:169]
	v_mul_f64 v[168:169], v[222:223], v[168:169]
	v_fma_f64 v[112:113], v[112:113], v[92:93], v[94:95]
	v_fma_f64 v[92:93], v[170:171], v[114:115], -v[228:229]
	v_fma_f64 v[94:95], v[172:173], v[114:115], v[116:117]
	v_fma_f64 v[114:115], v[174:175], v[118:119], -v[230:231]
	;; [unrolled: 2-line block ×14, first 2 shown]
	v_fma_f64 v[164:165], v[224:225], v[166:167], v[168:169]
	ds_write_b128 v106, v[110:113] offset:128
	ds_write_b128 v106, v[92:95] offset:256
	;; [unrolled: 1-line block ×15, first 2 shown]
.LBB0_9:
	s_or_b32 exec_lo, exec_lo, s1
	s_waitcnt lgkmcnt(0)
	s_barrier
	buffer_gl0_inv
	s_and_saveexec_b32 s0, vcc_lo
	s_cbranch_execz .LBB0_11
; %bb.10:
	ds_read_b128 v[60:63], v108
	ds_read_b128 v[64:67], v108 offset:128
	ds_read_b128 v[68:71], v108 offset:256
	;; [unrolled: 1-line block ×15, first 2 shown]
.LBB0_11:
	s_or_b32 exec_lo, exec_lo, s0
	s_waitcnt lgkmcnt(0)
	s_barrier
	buffer_gl0_inv
	s_and_saveexec_b32 s10, vcc_lo
	s_cbranch_execz .LBB0_13
; %bb.12:
	v_add_f64 v[46:47], v[70:71], -v[46:47]
	v_add_f64 v[56:57], v[84:85], -v[56:57]
	v_add_f64 v[30:31], v[62:63], -v[30:31]
	v_add_f64 v[36:37], v[76:77], -v[36:37]
	v_add_f64 v[58:59], v[86:87], -v[58:59]
	v_add_f64 v[44:45], v[68:69], -v[44:45]
	v_add_f64 v[42:43], v[74:75], -v[42:43]
	v_add_f64 v[52:53], v[88:89], -v[52:53]
	v_add_f64 v[34:35], v[66:67], -v[34:35]
	v_add_f64 v[48:49], v[80:81], -v[48:49]
	v_add_f64 v[54:55], v[90:91], -v[54:55]
	v_add_f64 v[40:41], v[72:73], -v[40:41]
	v_add_f64 v[50:51], v[82:83], -v[50:51]
	v_add_f64 v[32:33], v[64:65], -v[32:33]
	v_add_f64 v[38:39], v[78:79], -v[38:39]
	v_add_f64 v[28:29], v[60:61], -v[28:29]
	s_mov_b32 s0, 0x667f3bcd
	s_mov_b32 s1, 0x3fe6a09e
	s_mov_b32 s3, 0xbfe6a09e
	s_mov_b32 s2, s0
	s_mov_b32 s8, 0xcf328d46
	s_mov_b32 s9, 0x3fed906b
	v_fma_f64 v[70:71], v[70:71], 2.0, -v[46:47]
	v_add_f64 v[92:93], v[46:47], -v[56:57]
	v_fma_f64 v[62:63], v[62:63], 2.0, -v[30:31]
	v_add_f64 v[94:95], v[30:31], -v[36:37]
	v_fma_f64 v[36:37], v[76:77], 2.0, -v[36:37]
	v_add_f64 v[110:111], v[58:59], v[44:45]
	v_fma_f64 v[68:69], v[68:69], 2.0, -v[44:45]
	v_add_f64 v[112:113], v[42:43], -v[52:53]
	v_fma_f64 v[52:53], v[88:89], 2.0, -v[52:53]
	v_add_f64 v[114:115], v[34:35], -v[48:49]
	v_fma_f64 v[58:59], v[86:87], 2.0, -v[58:59]
	v_add_f64 v[116:117], v[54:55], v[40:41]
	v_fma_f64 v[72:73], v[72:73], 2.0, -v[40:41]
	v_add_f64 v[118:119], v[50:51], v[32:33]
	;; [unrolled: 2-line block ×3, first 2 shown]
	v_fma_f64 v[38:39], v[78:79], 2.0, -v[38:39]
	v_fma_f64 v[48:49], v[80:81], 2.0, -v[48:49]
	;; [unrolled: 1-line block ×10, first 2 shown]
	v_fma_f64 v[76:77], v[92:93], s[0:1], v[94:95]
	v_fma_f64 v[44:45], v[44:45], 2.0, -v[110:111]
	s_mov_b32 s16, 0xa6aea964
	v_fma_f64 v[42:43], v[42:43], 2.0, -v[112:113]
	s_mov_b32 s17, 0xbfd87de2
	v_fma_f64 v[34:35], v[34:35], 2.0, -v[114:115]
	v_add_f64 v[58:59], v[70:71], -v[58:59]
	v_fma_f64 v[40:41], v[40:41], 2.0, -v[116:117]
	v_add_f64 v[52:53], v[72:73], -v[52:53]
	v_fma_f64 v[32:33], v[32:33], 2.0, -v[118:119]
	v_fma_f64 v[78:79], v[112:113], s[0:1], v[114:115]
	v_fma_f64 v[28:29], v[28:29], 2.0, -v[120:121]
	v_add_f64 v[38:39], v[62:63], -v[38:39]
	v_add_f64 v[48:49], v[64:65], -v[48:49]
	;; [unrolled: 1-line block ×4, first 2 shown]
	v_fma_f64 v[80:81], v[116:117], s[0:1], v[118:119]
	v_add_f64 v[50:51], v[66:67], -v[50:51]
	v_fma_f64 v[82:83], v[110:111], s[0:1], v[120:121]
	v_add_f64 v[54:55], v[74:75], -v[54:55]
	s_mov_b32 s19, 0x3fd87de2
	v_fma_f64 v[84:85], v[46:47], s[2:3], v[30:31]
	v_fma_f64 v[76:77], v[110:111], s[2:3], v[76:77]
	s_mov_b32 s18, s16
	s_mov_b32 s21, 0xbfed906b
	;; [unrolled: 1-line block ×3, first 2 shown]
	v_fma_f64 v[86:87], v[42:43], s[2:3], v[34:35]
	v_fma_f64 v[70:71], v[70:71], 2.0, -v[58:59]
	v_fma_f64 v[72:73], v[72:73], 2.0, -v[52:53]
	v_fma_f64 v[88:89], v[40:41], s[2:3], v[32:33]
	v_fma_f64 v[78:79], v[116:117], s[2:3], v[78:79]
	;; [unrolled: 1-line block ×3, first 2 shown]
	v_fma_f64 v[62:63], v[62:63], 2.0, -v[38:39]
	v_fma_f64 v[64:65], v[64:65], 2.0, -v[48:49]
	;; [unrolled: 1-line block ×4, first 2 shown]
	v_add_f64 v[110:111], v[38:39], -v[56:57]
	v_add_f64 v[52:53], v[50:51], -v[52:53]
	v_fma_f64 v[56:57], v[66:67], 2.0, -v[50:51]
	v_fma_f64 v[66:67], v[74:75], 2.0, -v[54:55]
	v_fma_f64 v[74:75], v[112:113], s[0:1], v[80:81]
	v_fma_f64 v[80:81], v[92:93], s[0:1], v[82:83]
	v_add_f64 v[54:55], v[54:55], v[48:49]
	v_add_f64 v[82:83], v[36:37], v[58:59]
	v_fma_f64 v[84:85], v[44:45], s[2:3], v[84:85]
	v_fma_f64 v[40:41], v[40:41], s[2:3], v[86:87]
	;; [unrolled: 1-line block ×3, first 2 shown]
	v_fma_f64 v[58:59], v[114:115], 2.0, -v[78:79]
	v_fma_f64 v[88:89], v[46:47], s[0:1], v[90:91]
	v_add_f64 v[70:71], v[62:63], -v[70:71]
	v_add_f64 v[44:45], v[64:65], -v[72:73]
	v_fma_f64 v[72:73], v[94:95], 2.0, -v[76:77]
	v_add_f64 v[68:69], v[60:61], -v[68:69]
	v_fma_f64 v[86:87], v[38:39], 2.0, -v[110:111]
	v_fma_f64 v[90:91], v[50:51], 2.0, -v[52:53]
	v_add_f64 v[46:47], v[56:57], -v[66:67]
	v_fma_f64 v[50:51], v[118:119], 2.0, -v[74:75]
	v_fma_f64 v[92:93], v[120:121], 2.0, -v[80:81]
	;; [unrolled: 1-line block ×5, first 2 shown]
	v_fma_f64 v[120:121], v[54:55], s[0:1], v[82:83]
	v_fma_f64 v[118:119], v[74:75], s[8:9], v[80:81]
	v_fma_f64 v[66:67], v[34:35], 2.0, -v[40:41]
	v_fma_f64 v[122:123], v[40:41], s[18:19], v[84:85]
	v_fma_f64 v[114:115], v[32:33], 2.0, -v[42:43]
	;; [unrolled: 2-line block ×5, first 2 shown]
	v_fma_f64 v[60:61], v[64:65], 2.0, -v[44:45]
	v_fma_f64 v[126:127], v[90:91], s[2:3], v[86:87]
	v_fma_f64 v[132:133], v[42:43], s[18:19], v[88:89]
	v_fma_f64 v[56:57], v[56:57], 2.0, -v[46:47]
	v_add_f64 v[38:39], v[70:71], -v[44:45]
	v_fma_f64 v[64:65], v[50:51], s[16:17], v[92:93]
	v_add_f64 v[36:37], v[68:69], v[46:47]
	v_fma_f64 v[62:63], v[48:49], s[2:3], v[94:95]
	v_fma_f64 v[134:135], v[66:67], s[20:21], v[112:113]
	;; [unrolled: 1-line block ×9, first 2 shown]
	v_add_f64 v[52:53], v[130:131], -v[60:61]
	v_fma_f64 v[50:51], v[48:49], s[2:3], v[126:127]
	v_fma_f64 v[40:41], v[40:41], s[8:9], v[132:133]
	v_add_f64 v[54:55], v[128:129], -v[56:57]
	v_fma_f64 v[70:71], v[70:71], 2.0, -v[38:39]
	v_fma_f64 v[44:45], v[58:59], s[8:9], v[64:65]
	v_fma_f64 v[68:69], v[68:69], 2.0, -v[36:37]
	v_fma_f64 v[48:49], v[90:91], s[0:1], v[62:63]
	v_fma_f64 v[58:59], v[114:115], s[16:17], v[134:135]
	v_fma_f64 v[74:75], v[84:85], 2.0, -v[42:43]
	v_fma_f64 v[56:57], v[66:67], s[18:19], v[136:137]
	v_fma_f64 v[66:67], v[110:111], 2.0, -v[34:35]
	v_fma_f64 v[64:65], v[82:83], 2.0, -v[32:33]
	;; [unrolled: 1-line block ×10, first 2 shown]
	v_lshl_or_b32 v92, v97, 8, v109
	v_fma_f64 v[80:81], v[94:95], 2.0, -v[48:49]
	v_fma_f64 v[90:91], v[112:113], 2.0, -v[58:59]
	;; [unrolled: 1-line block ×3, first 2 shown]
	ds_write_b128 v92, v[36:39] offset:192
	ds_write_b128 v92, v[32:35] offset:224
	;; [unrolled: 1-line block ×9, first 2 shown]
	ds_write_b128 v92, v[84:87]
	ds_write_b128 v92, v[80:83] offset:32
	ds_write_b128 v92, v[76:79] offset:48
	;; [unrolled: 1-line block ×6, first 2 shown]
.LBB0_13:
	s_or_b32 exec_lo, exec_lo, s10
	s_waitcnt lgkmcnt(0)
	s_barrier
	buffer_gl0_inv
	ds_read_b128 v[28:31], v108 offset:256
	ds_read_b128 v[32:35], v108 offset:512
	;; [unrolled: 1-line block ×7, first 2 shown]
	ds_read_b128 v[56:59], v108
	s_mov_b32 s0, 0x667f3bcd
	s_mov_b32 s1, 0xbfe6a09e
	;; [unrolled: 1-line block ×4, first 2 shown]
	s_waitcnt lgkmcnt(7)
	v_mul_f64 v[60:61], v[10:11], v[30:31]
	v_mul_f64 v[10:11], v[10:11], v[28:29]
	s_waitcnt lgkmcnt(6)
	v_mul_f64 v[62:63], v[6:7], v[34:35]
	v_mul_f64 v[6:7], v[6:7], v[32:33]
	;; [unrolled: 3-line block ×7, first 2 shown]
	v_fma_f64 v[28:29], v[8:9], v[28:29], v[60:61]
	v_fma_f64 v[8:9], v[8:9], v[30:31], -v[10:11]
	v_fma_f64 v[10:11], v[4:5], v[32:33], v[62:63]
	v_fma_f64 v[4:5], v[4:5], v[34:35], -v[6:7]
	v_fma_f64 v[6:7], v[0:1], v[36:37], v[64:65]
	v_fma_f64 v[0:1], v[0:1], v[38:39], -v[2:3]
	v_fma_f64 v[2:3], v[12:13], v[40:41], v[66:67]
	v_fma_f64 v[12:13], v[12:13], v[42:43], -v[14:15]
	v_fma_f64 v[14:15], v[24:25], v[44:45], v[68:69]
	v_fma_f64 v[24:25], v[24:25], v[46:47], -v[26:27]
	v_fma_f64 v[26:27], v[20:21], v[48:49], v[70:71]
	v_fma_f64 v[20:21], v[20:21], v[50:51], -v[22:23]
	v_fma_f64 v[22:23], v[16:17], v[52:53], v[72:73]
	v_fma_f64 v[16:17], v[16:17], v[54:55], -v[18:19]
	s_waitcnt lgkmcnt(0)
	v_add_f64 v[6:7], v[56:57], -v[6:7]
	v_add_f64 v[0:1], v[58:59], -v[0:1]
	;; [unrolled: 1-line block ×8, first 2 shown]
	v_fma_f64 v[24:25], v[56:57], 2.0, -v[6:7]
	v_fma_f64 v[30:31], v[58:59], 2.0, -v[0:1]
	;; [unrolled: 1-line block ×6, first 2 shown]
	v_add_f64 v[32:33], v[6:7], v[12:13]
	v_add_f64 v[34:35], v[0:1], -v[2:3]
	v_fma_f64 v[2:3], v[26:27], 2.0, -v[22:23]
	v_fma_f64 v[12:13], v[20:21], 2.0, -v[16:17]
	v_add_f64 v[16:17], v[14:15], v[16:17]
	v_add_f64 v[20:21], v[18:19], -v[22:23]
	v_add_f64 v[22:23], v[24:25], -v[10:11]
	;; [unrolled: 1-line block ×3, first 2 shown]
	v_fma_f64 v[36:37], v[6:7], 2.0, -v[32:33]
	v_fma_f64 v[38:39], v[0:1], 2.0, -v[34:35]
	v_add_f64 v[2:3], v[28:29], -v[2:3]
	v_add_f64 v[0:1], v[8:9], -v[12:13]
	v_fma_f64 v[14:15], v[14:15], 2.0, -v[16:17]
	v_fma_f64 v[12:13], v[18:19], 2.0, -v[20:21]
	v_fma_f64 v[4:5], v[16:17], s[2:3], v[32:33]
	v_fma_f64 v[6:7], v[20:21], s[2:3], v[34:35]
	v_fma_f64 v[24:25], v[24:25], 2.0, -v[22:23]
	v_fma_f64 v[30:31], v[30:31], 2.0, -v[26:27]
	;; [unrolled: 1-line block ×4, first 2 shown]
	v_fma_f64 v[28:29], v[14:15], s[0:1], v[36:37]
	v_fma_f64 v[40:41], v[12:13], s[0:1], v[38:39]
	v_add_f64 v[0:1], v[22:23], v[0:1]
	v_add_f64 v[2:3], v[26:27], -v[2:3]
	v_fma_f64 v[4:5], v[20:21], s[2:3], v[4:5]
	v_fma_f64 v[6:7], v[16:17], s[0:1], v[6:7]
	v_add_f64 v[8:9], v[24:25], -v[10:11]
	v_add_f64 v[10:11], v[30:31], -v[18:19]
	v_fma_f64 v[12:13], v[12:13], s[2:3], v[28:29]
	v_fma_f64 v[14:15], v[14:15], s[0:1], v[40:41]
	v_fma_f64 v[16:17], v[22:23], 2.0, -v[0:1]
	v_fma_f64 v[18:19], v[26:27], 2.0, -v[2:3]
	;; [unrolled: 1-line block ×8, first 2 shown]
	ds_write_b128 v108, v[0:3] offset:1536
	ds_write_b128 v108, v[4:7] offset:1792
	;; [unrolled: 1-line block ×6, first 2 shown]
	ds_write_b128 v108, v[24:27]
	ds_write_b128 v108, v[28:31] offset:256
	s_waitcnt lgkmcnt(0)
	s_barrier
	buffer_gl0_inv
	s_and_b32 exec_lo, exec_lo, vcc_lo
	s_cbranch_execz .LBB0_15
; %bb.14:
	s_clause 0xf
	global_load_dwordx4 v[0:3], v107, s[14:15]
	global_load_dwordx4 v[4:7], v107, s[14:15] offset:128
	global_load_dwordx4 v[8:11], v107, s[14:15] offset:256
	;; [unrolled: 1-line block ×15, first 2 shown]
	ds_read_b128 v[64:67], v108
	ds_read_b128 v[68:71], v106 offset:128
	ds_read_b128 v[72:75], v106 offset:256
	;; [unrolled: 1-line block ×8, first 2 shown]
	v_mad_u64_u32 v[139:140], null, s6, v96, 0
	v_mad_u64_u32 v[141:142], null, s4, v97, 0
	;; [unrolled: 1-line block ×10, first 2 shown]
	ds_read_b128 v[111:114], v106 offset:1152
	ds_read_b128 v[115:118], v106 offset:1280
	;; [unrolled: 1-line block ×7, first 2 shown]
	v_mov_b32_e32 v106, v140
	v_mov_b32_e32 v140, v142
	;; [unrolled: 1-line block ×10, first 2 shown]
	s_waitcnt lgkmcnt(7)
	v_mad_u64_u32 v[158:159], null, s7, v96, v[106:107]
	v_mad_u64_u32 v[96:97], null, s5, v97, v[140:141]
	;; [unrolled: 1-line block ×4, first 2 shown]
	v_mov_b32_e32 v140, v158
	v_mad_u64_u32 v[99:100], null, s5, v100, v[146:147]
	v_mad_u64_u32 v[100:101], null, s5, v101, v[148:149]
	;; [unrolled: 1-line block ×3, first 2 shown]
	v_mov_b32_e32 v142, v96
	v_mov_b32_e32 v144, v97
	v_lshlrev_b64 v[96:97], 4, v[139:140]
	v_mad_u64_u32 v[102:103], null, s5, v103, v[152:153]
	v_mad_u64_u32 v[103:104], null, s5, v104, v[154:155]
	v_mov_b32_e32 v146, v98
	v_mov_b32_e32 v148, v99
	v_lshlrev_b64 v[98:99], 4, v[141:142]
	v_add_co_u32 v106, vcc_lo, s12, v96
	v_mov_b32_e32 v150, v100
	v_mov_b32_e32 v152, v101
	v_lshlrev_b64 v[100:101], 4, v[143:144]
	v_add_co_ci_u32_e32 v191, vcc_lo, s13, v97, vcc_lo
	v_mad_u64_u32 v[104:105], null, s5, v105, v[156:157]
	v_mov_b32_e32 v154, v102
	v_mov_b32_e32 v156, v103
	v_lshlrev_b64 v[102:103], 4, v[145:146]
	v_add_co_u32 v98, vcc_lo, v106, v98
	v_add_co_ci_u32_e32 v99, vcc_lo, v191, v99, vcc_lo
	v_add_co_u32 v100, vcc_lo, v106, v100
	v_add_co_ci_u32_e32 v101, vcc_lo, v191, v101, vcc_lo
	v_mov_b32_e32 v158, v104
	v_lshlrev_b64 v[104:105], 4, v[147:148]
	v_add_co_u32 v102, vcc_lo, v106, v102
	s_lshl_b64 s[0:1], s[4:5], 8
	v_add_co_ci_u32_e32 v103, vcc_lo, v191, v103, vcc_lo
	v_add_co_u32 v147, vcc_lo, v98, s0
	v_add_co_ci_u32_e32 v148, vcc_lo, s1, v99, vcc_lo
	v_lshlrev_b64 v[139:140], 4, v[149:150]
	v_add_co_u32 v104, vcc_lo, v106, v104
	v_add_co_ci_u32_e32 v105, vcc_lo, v191, v105, vcc_lo
	v_add_co_u32 v149, vcc_lo, v147, s0
	v_add_co_ci_u32_e32 v150, vcc_lo, s1, v148, vcc_lo
	v_lshlrev_b64 v[141:142], 4, v[151:152]
	v_add_co_u32 v139, vcc_lo, v106, v139
	;; [unrolled: 5-line block ×5, first 2 shown]
	v_add_co_ci_u32_e32 v146, vcc_lo, v191, v146, vcc_lo
	v_add_co_u32 v157, vcc_lo, v155, s0
	v_add_co_ci_u32_e32 v158, vcc_lo, s1, v156, vcc_lo
	s_waitcnt vmcnt(15)
	v_mul_f64 v[159:160], v[66:67], v[2:3]
	v_mul_f64 v[2:3], v[64:65], v[2:3]
	s_waitcnt vmcnt(14)
	v_mul_f64 v[161:162], v[70:71], v[6:7]
	v_mul_f64 v[6:7], v[68:69], v[6:7]
	;; [unrolled: 3-line block ×9, first 2 shown]
	s_waitcnt vmcnt(6) lgkmcnt(6)
	v_mul_f64 v[177:178], v[113:114], v[38:39]
	v_mul_f64 v[38:39], v[111:112], v[38:39]
	s_waitcnt vmcnt(5) lgkmcnt(5)
	v_mul_f64 v[179:180], v[117:118], v[42:43]
	v_mul_f64 v[42:43], v[115:116], v[42:43]
	;; [unrolled: 3-line block ×7, first 2 shown]
	v_fma_f64 v[64:65], v[64:65], v[0:1], v[159:160]
	v_fma_f64 v[2:3], v[0:1], v[66:67], -v[2:3]
	v_fma_f64 v[66:67], v[68:69], v[4:5], v[161:162]
	v_fma_f64 v[6:7], v[4:5], v[70:71], -v[6:7]
	;; [unrolled: 2-line block ×16, first 2 shown]
	v_ldexp_f64 v[0:1], v[64:65], -7
	v_ldexp_f64 v[2:3], v[2:3], -7
	;; [unrolled: 1-line block ×32, first 2 shown]
	v_add_co_u32 v64, vcc_lo, v106, v96
	v_add_co_ci_u32_e32 v65, vcc_lo, v191, v97, vcc_lo
	v_add_co_u32 v66, vcc_lo, v157, s0
	v_add_co_ci_u32_e32 v67, vcc_lo, s1, v158, vcc_lo
	global_store_dwordx4 v[98:99], v[0:3], off
	global_store_dwordx4 v[100:101], v[4:7], off
	;; [unrolled: 1-line block ×16, first 2 shown]
.LBB0_15:
	s_endpgm
	.section	.rodata,"a",@progbits
	.p2align	6, 0x0
	.amdhsa_kernel bluestein_single_fwd_len128_dim1_dp_op_CI_CI
		.amdhsa_group_segment_fixed_size 32768
		.amdhsa_private_segment_fixed_size 0
		.amdhsa_kernarg_size 104
		.amdhsa_user_sgpr_count 6
		.amdhsa_user_sgpr_private_segment_buffer 1
		.amdhsa_user_sgpr_dispatch_ptr 0
		.amdhsa_user_sgpr_queue_ptr 0
		.amdhsa_user_sgpr_kernarg_segment_ptr 1
		.amdhsa_user_sgpr_dispatch_id 0
		.amdhsa_user_sgpr_flat_scratch_init 0
		.amdhsa_user_sgpr_private_segment_size 0
		.amdhsa_wavefront_size32 1
		.amdhsa_uses_dynamic_stack 0
		.amdhsa_system_sgpr_private_segment_wavefront_offset 0
		.amdhsa_system_sgpr_workgroup_id_x 1
		.amdhsa_system_sgpr_workgroup_id_y 0
		.amdhsa_system_sgpr_workgroup_id_z 0
		.amdhsa_system_sgpr_workgroup_info 0
		.amdhsa_system_vgpr_workitem_id 0
		.amdhsa_next_free_vgpr 254
		.amdhsa_next_free_sgpr 22
		.amdhsa_reserve_vcc 1
		.amdhsa_reserve_flat_scratch 0
		.amdhsa_float_round_mode_32 0
		.amdhsa_float_round_mode_16_64 0
		.amdhsa_float_denorm_mode_32 3
		.amdhsa_float_denorm_mode_16_64 3
		.amdhsa_dx10_clamp 1
		.amdhsa_ieee_mode 1
		.amdhsa_fp16_overflow 0
		.amdhsa_workgroup_processor_mode 1
		.amdhsa_memory_ordered 1
		.amdhsa_forward_progress 0
		.amdhsa_shared_vgpr_count 0
		.amdhsa_exception_fp_ieee_invalid_op 0
		.amdhsa_exception_fp_denorm_src 0
		.amdhsa_exception_fp_ieee_div_zero 0
		.amdhsa_exception_fp_ieee_overflow 0
		.amdhsa_exception_fp_ieee_underflow 0
		.amdhsa_exception_fp_ieee_inexact 0
		.amdhsa_exception_int_div_zero 0
	.end_amdhsa_kernel
	.text
.Lfunc_end0:
	.size	bluestein_single_fwd_len128_dim1_dp_op_CI_CI, .Lfunc_end0-bluestein_single_fwd_len128_dim1_dp_op_CI_CI
                                        ; -- End function
	.section	.AMDGPU.csdata,"",@progbits
; Kernel info:
; codeLenInByte = 9504
; NumSgprs: 24
; NumVgprs: 254
; ScratchSize: 0
; MemoryBound: 0
; FloatMode: 240
; IeeeMode: 1
; LDSByteSize: 32768 bytes/workgroup (compile time only)
; SGPRBlocks: 2
; VGPRBlocks: 31
; NumSGPRsForWavesPerEU: 24
; NumVGPRsForWavesPerEU: 254
; Occupancy: 4
; WaveLimiterHint : 1
; COMPUTE_PGM_RSRC2:SCRATCH_EN: 0
; COMPUTE_PGM_RSRC2:USER_SGPR: 6
; COMPUTE_PGM_RSRC2:TRAP_HANDLER: 0
; COMPUTE_PGM_RSRC2:TGID_X_EN: 1
; COMPUTE_PGM_RSRC2:TGID_Y_EN: 0
; COMPUTE_PGM_RSRC2:TGID_Z_EN: 0
; COMPUTE_PGM_RSRC2:TIDIG_COMP_CNT: 0
	.text
	.p2alignl 6, 3214868480
	.fill 48, 4, 3214868480
	.type	__hip_cuid_cdbd5932cbf295c9,@object ; @__hip_cuid_cdbd5932cbf295c9
	.section	.bss,"aw",@nobits
	.globl	__hip_cuid_cdbd5932cbf295c9
__hip_cuid_cdbd5932cbf295c9:
	.byte	0                               ; 0x0
	.size	__hip_cuid_cdbd5932cbf295c9, 1

	.ident	"AMD clang version 19.0.0git (https://github.com/RadeonOpenCompute/llvm-project roc-6.4.0 25133 c7fe45cf4b819c5991fe208aaa96edf142730f1d)"
	.section	".note.GNU-stack","",@progbits
	.addrsig
	.addrsig_sym __hip_cuid_cdbd5932cbf295c9
	.amdgpu_metadata
---
amdhsa.kernels:
  - .args:
      - .actual_access:  read_only
        .address_space:  global
        .offset:         0
        .size:           8
        .value_kind:     global_buffer
      - .actual_access:  read_only
        .address_space:  global
        .offset:         8
        .size:           8
        .value_kind:     global_buffer
      - .actual_access:  read_only
        .address_space:  global
        .offset:         16
        .size:           8
        .value_kind:     global_buffer
      - .actual_access:  read_only
        .address_space:  global
        .offset:         24
        .size:           8
        .value_kind:     global_buffer
      - .actual_access:  read_only
        .address_space:  global
        .offset:         32
        .size:           8
        .value_kind:     global_buffer
      - .offset:         40
        .size:           8
        .value_kind:     by_value
      - .address_space:  global
        .offset:         48
        .size:           8
        .value_kind:     global_buffer
      - .address_space:  global
        .offset:         56
        .size:           8
        .value_kind:     global_buffer
      - .address_space:  global
        .offset:         64
        .size:           8
        .value_kind:     global_buffer
      - .address_space:  global
        .offset:         72
        .size:           8
        .value_kind:     global_buffer
      - .offset:         80
        .size:           4
        .value_kind:     by_value
      - .address_space:  global
        .offset:         88
        .size:           8
        .value_kind:     global_buffer
      - .address_space:  global
        .offset:         96
        .size:           8
        .value_kind:     global_buffer
    .group_segment_fixed_size: 32768
    .kernarg_segment_align: 8
    .kernarg_segment_size: 104
    .language:       OpenCL C
    .language_version:
      - 2
      - 0
    .max_flat_workgroup_size: 256
    .name:           bluestein_single_fwd_len128_dim1_dp_op_CI_CI
    .private_segment_fixed_size: 0
    .sgpr_count:     24
    .sgpr_spill_count: 0
    .symbol:         bluestein_single_fwd_len128_dim1_dp_op_CI_CI.kd
    .uniform_work_group_size: 1
    .uses_dynamic_stack: false
    .vgpr_count:     254
    .vgpr_spill_count: 0
    .wavefront_size: 32
    .workgroup_processor_mode: 1
amdhsa.target:   amdgcn-amd-amdhsa--gfx1030
amdhsa.version:
  - 1
  - 2
...

	.end_amdgpu_metadata
